;; amdgpu-corpus repo=ROCm/rocFFT kind=compiled arch=gfx1030 opt=O3
	.text
	.amdgcn_target "amdgcn-amd-amdhsa--gfx1030"
	.amdhsa_code_object_version 6
	.protected	fft_rtc_fwd_len121_factors_11_11_wgs_121_tpt_11_half_op_CI_CI_sbrc_z_xy_diag ; -- Begin function fft_rtc_fwd_len121_factors_11_11_wgs_121_tpt_11_half_op_CI_CI_sbrc_z_xy_diag
	.globl	fft_rtc_fwd_len121_factors_11_11_wgs_121_tpt_11_half_op_CI_CI_sbrc_z_xy_diag
	.p2align	8
	.type	fft_rtc_fwd_len121_factors_11_11_wgs_121_tpt_11_half_op_CI_CI_sbrc_z_xy_diag,@function
fft_rtc_fwd_len121_factors_11_11_wgs_121_tpt_11_half_op_CI_CI_sbrc_z_xy_diag: ; @fft_rtc_fwd_len121_factors_11_11_wgs_121_tpt_11_half_op_CI_CI_sbrc_z_xy_diag
; %bb.0:
	s_load_dwordx8 s[8:15], s[4:5], 0x0
	v_mov_b32_e32 v9, 0
	s_waitcnt lgkmcnt(0)
	s_load_dwordx4 s[0:3], s[12:13], 0x8
	s_load_dwordx2 s[12:13], s[4:5], 0x20
	s_load_dwordx4 s[16:19], s[14:15], 0x0
	s_waitcnt lgkmcnt(0)
	s_add_i32 s0, s0, -1
	s_mul_hi_u32 s0, s0, 0xba2e8ba3
	s_lshr_b32 s0, s0, 3
	s_add_i32 s7, s0, 1
	s_mul_i32 s7, s7, s2
	v_cvt_f32_u32_e32 v1, s7
	s_sub_i32 s1, 0, s7
	v_rcp_iflag_f32_e32 v1, v1
	v_mul_f32_e32 v1, 0x4f7ffffe, v1
	v_cvt_u32_f32_e32 v1, v1
	v_readfirstlane_b32 s0, v1
	v_mul_u32_u24_e32 v1, 0x21e, v0
	s_mul_i32 s1, s1, s0
	v_lshrrev_b32_e32 v27, 16, v1
	s_mul_hi_u32 s1, s0, s1
	s_add_i32 s0, s0, s1
	v_mul_lo_u32 v8, s18, v27
	s_mul_hi_u32 s0, s6, s0
	v_mul_lo_u16 v7, 0x79, v27
	s_mul_i32 s1, s0, s7
	s_add_i32 s2, s0, 1
	s_sub_i32 s1, s6, s1
	s_sub_i32 s3, s1, s7
	s_cmp_ge_u32 s1, s7
	v_lshlrev_b64 v[1:2], 2, v[8:9]
	s_cselect_b32 s0, s2, s0
	s_cselect_b32 s1, s3, s1
	s_add_i32 s2, s0, 1
	s_cmp_ge_u32 s1, s7
	v_add_nc_u32_e32 v8, s18, v8
	s_cselect_b32 s19, s2, s0
	s_load_dwordx4 s[0:3], s[4:5], 0x58
	s_mul_i32 s4, s19, s7
	v_sub_nc_u16 v7, v0, v7
	s_sub_i32 s20, s6, s4
	s_load_dwordx4 s[4:7], s[12:13], 0x0
	s_mul_hi_u32 s21, s20, 0xba2e8ba3
	v_lshlrev_b64 v[3:4], 2, v[8:9]
	s_waitcnt lgkmcnt(0)
	s_lshr_b32 s7, s21, 3
	s_load_dword s21, s[14:15], 0x10
	s_mul_i32 s22, s7, 11
	v_add_nc_u32_e32 v8, s18, v8
	s_sub_i32 s20, s20, s22
	v_and_b32_e32 v28, 0xffff, v7
	s_add_i32 s7, s7, s20
	s_load_dword s22, s[12:13], 0x10
	s_mul_hi_u32 s23, s7, 0xecf56bf
	v_lshlrev_b64 v[5:6], 2, v[8:9]
	s_sub_i32 s24, s7, s23
	v_add_nc_u32_e32 v8, s18, v8
	s_lshr_b32 s26, s24, 1
	s_lshl_b64 s[24:25], s[10:11], 3
	s_add_i32 s26, s26, s23
	s_mul_i32 s10, s20, 11
	s_lshr_b32 s11, s26, 6
	s_mul_i32 s20, s10, s18
	s_mulk_i32 s11, 0x79
	s_mul_i32 s23, s5, s10
	s_sub_i32 s7, s7, s11
	s_mul_hi_u32 s11, s4, s10
	s_waitcnt lgkmcnt(0)
	s_mul_i32 s21, s7, s21
	s_add_i32 s11, s11, s23
	s_add_i32 s20, s21, s20
	s_add_u32 s14, s14, s24
	s_addc_u32 s15, s15, s25
	v_lshlrev_b64 v[10:11], 2, v[8:9]
	s_load_dwordx2 s[14:15], s[14:15], 0x0
	v_add_nc_u32_e32 v8, s18, v8
	v_mad_u64_u32 v[14:15], null, s16, v28, 0
	s_mov_b32 s21, 0
	v_lshlrev_b64 v[12:13], 2, v[8:9]
	v_add_nc_u32_e32 v8, s18, v8
	v_mov_b32_e32 v7, v15
	v_lshlrev_b64 v[16:17], 2, v[8:9]
	v_add_nc_u32_e32 v8, s18, v8
	v_lshlrev_b64 v[18:19], 2, v[8:9]
	v_add_nc_u32_e32 v8, s18, v8
	s_waitcnt lgkmcnt(0)
	s_mul_i32 s15, s15, s19
	s_mul_hi_u32 s16, s14, s19
	s_mul_i32 s14, s14, s19
	s_add_i32 s15, s16, s15
	s_add_u32 s12, s12, s24
	s_addc_u32 s13, s13, s25
	v_mad_u64_u32 v[20:21], null, s17, v28, v[7:8]
	s_load_dwordx2 s[12:13], s[12:13], 0x0
	s_lshl_b64 s[14:15], s[14:15], 2
	v_lshlrev_b64 v[21:22], 2, v[8:9]
	v_add_nc_u32_e32 v8, s18, v8
	v_mov_b32_e32 v15, v20
	v_lshlrev_b64 v[23:24], 2, v[8:9]
	v_add_nc_u32_e32 v8, s18, v8
	v_lshlrev_b64 v[14:15], 2, v[14:15]
	v_lshlrev_b64 v[25:26], 2, v[8:9]
	v_add_nc_u32_e32 v8, s18, v8
	v_lshlrev_b64 v[7:8], 2, v[8:9]
	s_waitcnt lgkmcnt(0)
	s_mul_i32 s13, s13, s19
	s_mul_hi_u32 s16, s12, s19
	s_mul_i32 s12, s12, s19
	s_add_i32 s13, s16, s13
	s_add_u32 s14, s0, s14
	s_addc_u32 s15, s1, s15
	s_lshl_b64 s[0:1], s[20:21], 2
	s_mul_i32 s20, s7, s6
	s_add_u32 s0, s14, s0
	s_addc_u32 s1, s15, s1
	v_add_co_u32 v29, vcc_lo, s0, v14
	v_add_co_ci_u32_e32 v30, vcc_lo, s1, v15, vcc_lo
	s_lshl_b64 s[0:1], s[12:13], 2
	v_add_co_u32 v1, vcc_lo, v29, v1
	v_add_co_ci_u32_e32 v2, vcc_lo, v30, v2, vcc_lo
	v_add_co_u32 v3, vcc_lo, v29, v3
	v_add_co_ci_u32_e32 v4, vcc_lo, v30, v4, vcc_lo
	;; [unrolled: 2-line block ×11, first 2 shown]
	s_clause 0xa
	global_load_dword v1, v[1:2], off
	global_load_dword v2, v[3:4], off
	;; [unrolled: 1-line block ×11, first 2 shown]
	v_mul_u32_u24_e32 v4, 0x1746, v0
	v_mov_b32_e32 v16, 0x79
	v_mul_u32_u24_e32 v17, 0x1e4, v27
	s_add_u32 s2, s2, s0
	s_addc_u32 s3, s3, s1
	v_lshrrev_b32_e32 v22, 16, v4
	v_add_nc_u32_e32 v4, s10, v22
	s_mul_i32 s10, s4, s10
	s_lshl_b64 s[0:1], s[10:11], 2
	v_and_b32_e32 v5, 0xff, v4
	s_add_u32 s2, s2, s0
	s_addc_u32 s3, s3, s1
	s_lshl_b64 s[0:1], s[20:21], 2
	v_mul_lo_u16 v5, 0x75, v5
	s_add_u32 s0, s2, s0
	s_addc_u32 s1, s3, s1
	v_lshrrev_b16 v5, 8, v5
	v_sub_nc_u16 v8, v4, v5
	v_lshrrev_b16 v8, 1, v8
	v_and_b32_e32 v8, 0x7f, v8
	v_add_nc_u16 v5, v8, v5
	v_mul_lo_u16 v8, v22, 11
	v_lshrrev_b16 v5, 3, v5
	v_sub_nc_u16 v0, v0, v8
	v_mul_lo_u16 v5, v5, 11
	v_and_b32_e32 v23, 0xffff, v0
	v_sub_nc_u16 v4, v4, v5
	v_lshlrev_b32_e32 v5, 2, v28
	v_mul_u32_u24_sdwa v0, v4, v16 dst_sel:DWORD dst_unused:UNUSED_PAD src0_sel:BYTE_0 src1_sel:DWORD
	v_add3_u32 v8, 0, v17, v5
	v_lshlrev_b32_e32 v4, 2, v23
	v_lshlrev_b32_e32 v5, 2, v0
	v_add_nc_u32_e32 v0, 0x200, v8
	v_add_nc_u32_e32 v16, 0x600, v8
	;; [unrolled: 1-line block ×4, first 2 shown]
	v_add3_u32 v24, 0, v4, v5
	v_add3_u32 v25, 0, v5, v4
	s_waitcnt vmcnt(9)
	ds_write2_b32 v8, v1, v2 offset1:121
	s_waitcnt vmcnt(7)
	ds_write2_b32 v0, v3, v6 offset0:114 offset1:235
	s_waitcnt vmcnt(5)
	ds_write2_b32 v16, v10, v11 offset0:100 offset1:221
	;; [unrolled: 2-line block ×4, first 2 shown]
	s_waitcnt vmcnt(0)
	ds_write_b32 v8, v7 offset:4840
	s_waitcnt lgkmcnt(0)
	s_barrier
	buffer_gl0_inv
	ds_read2_b32 v[2:3], v24 offset0:11 offset1:22
	ds_read2_b32 v[0:1], v24 offset0:99 offset1:110
	ds_read2_b32 v[6:7], v24 offset0:33 offset1:44
	ds_read2_b32 v[10:11], v24 offset0:77 offset1:88
	ds_read2_b32 v[4:5], v24 offset0:55 offset1:66
	ds_read_b32 v13, v25
	v_mul_u32_u24_e32 v8, 10, v23
	v_mad_u32_u24 v12, v23, 40, v24
	s_waitcnt lgkmcnt(0)
	s_barrier
	buffer_gl0_inv
	v_lshlrev_b32_e32 v8, 2, v8
	v_add_f16_e32 v14, v1, v2
	v_add_f16_sdwa v15, v1, v2 dst_sel:DWORD dst_unused:UNUSED_PAD src0_sel:WORD_1 src1_sel:WORD_1
	v_sub_f16_e32 v16, v2, v1
	v_sub_f16_sdwa v17, v2, v1 dst_sel:DWORD dst_unused:UNUSED_PAD src0_sel:WORD_1 src1_sel:WORD_1
	v_add_f16_e32 v38, v2, v13
	v_add_f16_sdwa v2, v2, v13 dst_sel:DWORD dst_unused:UNUSED_PAD src0_sel:WORD_1 src1_sel:WORD_1
	v_add_f16_e32 v18, v0, v3
	v_add_f16_sdwa v19, v0, v3 dst_sel:DWORD dst_unused:UNUSED_PAD src0_sel:WORD_1 src1_sel:WORD_1
	v_sub_f16_e32 v20, v3, v0
	v_sub_f16_sdwa v21, v3, v0 dst_sel:DWORD dst_unused:UNUSED_PAD src0_sel:WORD_1 src1_sel:WORD_1
	v_add_f16_e32 v26, v11, v6
	v_sub_f16_e32 v28, v6, v11
	v_sub_f16_sdwa v29, v6, v11 dst_sel:DWORD dst_unused:UNUSED_PAD src0_sel:WORD_1 src1_sel:WORD_1
	v_add_f16_e32 v30, v10, v7
	;; [unrolled: 3-line block ×4, first 2 shown]
	v_add_f16_sdwa v2, v2, v3 dst_sel:DWORD dst_unused:UNUSED_PAD src0_sel:DWORD src1_sel:WORD_1
	v_mul_f16_e32 v40, 0xb853, v16
	v_mul_f16_e32 v42, 0xbb47, v16
	;; [unrolled: 1-line block ×4, first 2 shown]
	v_pack_b32_f16 v16, v16, v14
	v_add_f16_sdwa v27, v11, v6 dst_sel:DWORD dst_unused:UNUSED_PAD src0_sel:WORD_1 src1_sel:WORD_1
	v_add_f16_sdwa v31, v10, v7 dst_sel:DWORD dst_unused:UNUSED_PAD src0_sel:WORD_1 src1_sel:WORD_1
	;; [unrolled: 1-line block ×3, first 2 shown]
	v_mul_f16_e32 v39, 0xb853, v17
	v_mul_f16_e32 v41, 0xbb47, v17
	;; [unrolled: 1-line block ×12, first 2 shown]
	v_pack_b32_f16 v3, v15, v17
	v_pack_b32_f16 v17, v19, v21
	;; [unrolled: 1-line block ×3, first 2 shown]
	v_mul_f16_e32 v21, 0xbbeb, v29
	v_mul_f16_e32 v55, 0x3482, v29
	v_mul_f16_e32 v56, 0x3b47, v29
	v_mul_f16_e32 v57, 0xb853, v29
	v_pack_b32_f16 v58, v28, v26
	v_mul_f16_e32 v59, 0xbbeb, v28
	v_mul_f16_e32 v60, 0x3482, v28
	v_mul_f16_e32 v61, 0x3b47, v28
	v_mul_f16_e32 v28, 0xb853, v28
	v_mul_f16_e32 v62, 0xba0c, v33
	v_mul_f16_e32 v63, 0x3beb, v33
	v_mul_f16_e32 v64, 0xb853, v33
	v_mul_f16_e32 v65, 0xb482, v33
	v_pack_b32_f16 v66, v32, v30
	v_mul_f16_e32 v67, 0xba0c, v32
	v_mul_f16_e32 v68, 0x3beb, v32
	v_mul_f16_e32 v69, 0xb853, v32
	v_mul_f16_e32 v32, 0xb482, v32
	;; [unrolled: 9-line block ×3, first 2 shown]
	v_add_f16_e32 v38, v38, v6
	v_add_f16_sdwa v2, v2, v6 dst_sel:DWORD dst_unused:UNUSED_PAD src0_sel:DWORD src1_sel:WORD_1
	v_pk_mul_f16 v16, 0xbbadb482, v16
	v_pack_b32_f16 v29, v27, v29
	v_pack_b32_f16 v33, v31, v33
	;; [unrolled: 1-line block ×3, first 2 shown]
	v_fma_f16 v78, v14, 0x3abb, -v39
	v_fmamk_f16 v79, v15, 0x3abb, v40
	v_fmac_f16_e32 v39, 0x3abb, v14
	v_fma_f16 v40, v15, 0x3abb, -v40
	v_fma_f16 v80, v14, 0x36a6, -v41
	v_fmamk_f16 v81, v15, 0x36a6, v42
	v_fmac_f16_e32 v41, 0x36a6, v14
	v_fma_f16 v42, v15, 0x36a6, -v42
	v_fma_f16 v82, v14, 0xb08e, -v43
	v_fmamk_f16 v83, v15, 0xb08e, v44
	v_fmac_f16_e32 v43, 0xb08e, v14
	v_fma_f16 v44, v15, 0xb08e, -v44
	v_fma_f16 v84, v14, 0xb93d, -v45
	v_fmac_f16_e32 v45, 0xb93d, v14
	v_fmamk_f16 v6, v15, 0xb93d, v46
	v_fma_f16 v14, v15, 0xb93d, -v46
	v_fma_f16 v15, v18, 0x36a6, -v47
	v_fmamk_f16 v46, v19, 0x36a6, v48
	v_fmac_f16_e32 v47, 0x36a6, v18
	v_fma_f16 v48, v19, 0x36a6, -v48
	v_fma_f16 v85, v18, 0xb93d, -v49
	v_fmac_f16_e32 v49, 0xb93d, v18
	v_fma_f16 v86, v18, 0xbbad, -v51
	v_fmac_f16_e32 v51, 0xbbad, v18
	;; [unrolled: 2-line block ×3, first 2 shown]
	v_fmamk_f16 v18, v19, 0xb93d, v50
	v_fma_f16 v50, v19, 0xb93d, -v50
	v_fmamk_f16 v88, v19, 0xbbad, v52
	v_fma_f16 v52, v19, 0xbbad, -v52
	v_fmamk_f16 v89, v19, 0xb08e, v54
	v_fma_f16 v19, v19, 0xb08e, -v54
	v_fma_f16 v54, v26, 0xb08e, -v21
	v_fmac_f16_e32 v21, 0xb08e, v26
	v_fma_f16 v90, v26, 0xbbad, -v55
	v_fmac_f16_e32 v55, 0xbbad, v26
	v_fma_f16 v91, v26, 0x36a6, -v56
	v_fmac_f16_e32 v56, 0x36a6, v26
	v_fma_f16 v92, v26, 0x3abb, -v57
	v_fmac_f16_e32 v57, 0x3abb, v26
	v_fmamk_f16 v26, v27, 0xb08e, v59
	v_fma_f16 v59, v27, 0xb08e, -v59
	v_fmamk_f16 v93, v27, 0xbbad, v60
	v_fma_f16 v60, v27, 0xbbad, -v60
	v_fmamk_f16 v94, v27, 0x36a6, v61
	v_fma_f16 v61, v27, 0x36a6, -v61
	v_fmamk_f16 v95, v27, 0x3abb, v28
	v_fma_f16 v27, v27, 0x3abb, -v28
	v_fma_f16 v28, v30, 0xb93d, -v62
	v_fmac_f16_e32 v62, 0xb93d, v30
	v_fma_f16 v96, v30, 0xb08e, -v63
	v_fmac_f16_e32 v63, 0xb08e, v30
	v_fma_f16 v97, v30, 0x3abb, -v64
	v_fmac_f16_e32 v64, 0x3abb, v30
	v_fma_f16 v98, v30, 0xbbad, -v65
	v_fmac_f16_e32 v65, 0xbbad, v30
	v_fmamk_f16 v30, v31, 0xb93d, v67
	v_fma_f16 v67, v31, 0xb93d, -v67
	;; [unrolled: 16-line block ×3, first 2 shown]
	v_fmamk_f16 v105, v35, 0x3abb, v76
	v_fma_f16 v76, v35, 0x3abb, -v76
	v_fmamk_f16 v106, v35, 0xb93d, v77
	v_fma_f16 v77, v35, 0xb93d, -v77
	;; [unrolled: 2-line block ×3, first 2 shown]
	v_pk_mul_f16 v20, 0x3abb3853, v20
	v_pk_mul_f16 v36, 0xb93dba0c, v58
	;; [unrolled: 1-line block ×4, first 2 shown]
	v_add_f16_e32 v38, v38, v7
	v_add_f16_sdwa v2, v2, v7 dst_sel:DWORD dst_unused:UNUSED_PAD src0_sel:DWORD src1_sel:WORD_1
	v_pk_fma_f16 v7, 0xb482bbad, v3, v16 neg_lo:[0,1,0] neg_hi:[0,1,0]
	v_pk_fma_f16 v74, 0xb482bbad, v3, v16
	v_pk_fma_f16 v3, 0xb482bbad, v3, v16 neg_lo:[0,0,1] neg_hi:[0,0,1]
	v_pk_fma_f16 v16, 0x38533abb, v17, v20 neg_lo:[0,1,0] neg_hi:[0,1,0]
	v_pk_fma_f16 v108, 0x38533abb, v17, v20
	v_pk_fma_f16 v17, 0x38533abb, v17, v20 neg_lo:[0,0,1] neg_hi:[0,0,1]
	;; [unrolled: 3-line block ×5, first 2 shown]
	v_add_f16_e32 v66, v78, v13
	v_add_f16_sdwa v78, v79, v13 dst_sel:DWORD dst_unused:UNUSED_PAD src0_sel:DWORD src1_sel:WORD_1
	v_add_f16_e32 v39, v39, v13
	v_add_f16_sdwa v40, v40, v13 dst_sel:DWORD dst_unused:UNUSED_PAD src0_sel:DWORD src1_sel:WORD_1
	v_add_f16_sdwa v14, v14, v13 dst_sel:DWORD dst_unused:UNUSED_PAD src0_sel:DWORD src1_sel:WORD_1
	v_add_f16_e32 v38, v38, v4
	v_add_f16_sdwa v2, v2, v4 dst_sel:DWORD dst_unused:UNUSED_PAD src0_sel:DWORD src1_sel:WORD_1
	v_add_f16_e32 v79, v80, v13
	;; [unrolled: 2-line block ×5, first 2 shown]
	v_add_f16_e32 v83, v84, v13
	v_add_f16_sdwa v6, v6, v13 dst_sel:DWORD dst_unused:UNUSED_PAD src0_sel:DWORD src1_sel:WORD_1
	v_add_f16_sdwa v44, v44, v13 dst_sel:DWORD dst_unused:UNUSED_PAD src0_sel:DWORD src1_sel:WORD_1
	v_add_f16_e32 v45, v45, v13
	v_pk_add_f16 v4, v7, v13 op_sel:[0,1] op_sel_hi:[1,0]
	v_pk_add_f16 v7, v74, v13 op_sel:[0,1] op_sel_hi:[1,0]
	;; [unrolled: 1-line block ×3, first 2 shown]
	v_add_f16_e32 v13, v15, v66
	v_add_f16_e32 v15, v46, v78
	;; [unrolled: 1-line block ×6, first 2 shown]
	v_add_f16_sdwa v2, v2, v5 dst_sel:DWORD dst_unused:UNUSED_PAD src0_sel:DWORD src1_sel:WORD_1
	v_add_f16_e32 v46, v85, v79
	v_add_f16_e32 v18, v18, v80
	;; [unrolled: 1-line block ×11, first 2 shown]
	v_pk_add_f16 v4, v16, v4
	v_pk_add_f16 v5, v108, v7
	;; [unrolled: 1-line block ×3, first 2 shown]
	v_add_f16_e32 v7, v54, v13
	v_add_f16_e32 v13, v26, v15
	;; [unrolled: 1-line block ×5, first 2 shown]
	v_add_f16_sdwa v2, v2, v10 dst_sel:DWORD dst_unused:UNUSED_PAD src0_sel:DWORD src1_sel:WORD_1
	v_add_f16_e32 v17, v90, v46
	v_add_f16_e32 v18, v93, v18
	;; [unrolled: 1-line block ×12, first 2 shown]
	v_pk_add_f16 v4, v20, v4
	v_pk_add_f16 v5, v109, v5
	;; [unrolled: 1-line block ×3, first 2 shown]
	v_add_f16_e32 v13, v30, v13
	v_add_f16_e32 v15, v62, v15
	v_add_f16_e32 v16, v67, v16
	v_add_f16_e32 v19, v19, v11
	v_add_f16_sdwa v2, v2, v11 dst_sel:DWORD dst_unused:UNUSED_PAD src0_sel:DWORD src1_sel:WORD_1
	v_add_f16_e32 v7, v28, v7
	v_add_f16_e32 v17, v96, v17
	;; [unrolled: 1-line block ×13, first 2 shown]
	v_pk_add_f16 v4, v36, v4
	v_pk_add_f16 v5, v110, v5
	;; [unrolled: 1-line block ×3, first 2 shown]
	v_add_f16_e32 v11, v34, v13
	v_add_f16_e32 v13, v70, v15
	;; [unrolled: 1-line block ×4, first 2 shown]
	v_add_f16_sdwa v0, v2, v0 dst_sel:DWORD dst_unused:UNUSED_PAD src0_sel:DWORD src1_sel:WORD_1
	v_add_f16_e32 v7, v32, v7
	v_add_f16_e32 v16, v102, v17
	;; [unrolled: 1-line block ×13, first 2 shown]
	v_pk_add_f16 v2, v58, v4
	v_pk_add_f16 v4, v111, v5
	;; [unrolled: 1-line block ×3, first 2 shown]
	v_pack_b32_f16 v13, v13, v15
	v_add_f16_e32 v15, v19, v1
	v_add_f16_sdwa v0, v0, v1 dst_sel:WORD_1 dst_unused:UNUSED_PAD src0_sel:DWORD src1_sel:WORD_1
	v_pack_b32_f16 v5, v16, v17
	v_pack_b32_f16 v7, v7, v11
	;; [unrolled: 1-line block ×7, first 2 shown]
	v_alignbit_b32 v3, v3, v4, 16
	v_alignbit_b32 v2, v4, v2, 16
	v_or_b32_sdwa v0, v0, v15 dst_sel:DWORD dst_unused:UNUSED_PAD src0_sel:DWORD src1_sel:WORD_0
	ds_write2_b32 v12, v7, v5 offset0:1 offset1:2
	ds_write2_b32 v12, v11, v6 offset0:3 offset1:4
	;; [unrolled: 1-line block ×5, first 2 shown]
	ds_write_b32 v12, v0
	s_waitcnt lgkmcnt(0)
	s_barrier
	buffer_gl0_inv
	s_clause 0x2
	global_load_dwordx4 v[0:3], v8, s[8:9]
	global_load_dwordx4 v[4:7], v8, s[8:9] offset:16
	global_load_dwordx2 v[10:11], v8, s[8:9] offset:32
	v_mad_u64_u32 v[20:21], null, s4, v23, 0
	v_mul_lo_u32 v8, s22, v22
	s_mul_i32 s22, s22, 11
	ds_read2_b32 v[35:36], v24 offset0:55 offset1:66
	ds_read2_b32 v[37:38], v24 offset0:77 offset1:88
	;; [unrolled: 1-line block ×5, first 2 shown]
	ds_read_u16 v45, v24 offset:222
	ds_read_b32 v25, v25
	v_mad_u64_u32 v[26:27], null, s5, v23, v[21:22]
	v_lshlrev_b64 v[12:13], 2, v[8:9]
	v_add_nc_u32_e32 v8, s22, v8
	v_lshlrev_b32_e32 v22, 2, v22
	v_mul_u32_u24_e32 v23, 0x1e4, v23
	s_waitcnt vmcnt(0) lgkmcnt(0)
	s_barrier
	v_mov_b32_e32 v21, v26
	v_lshlrev_b64 v[14:15], 2, v[8:9]
	v_add_nc_u32_e32 v8, s22, v8
	v_add3_u32 v26, 0, v23, v22
	buffer_gl0_inv
	v_lshlrev_b64 v[22:23], 2, v[20:21]
	v_lshlrev_b64 v[16:17], 2, v[8:9]
	v_add_nc_u32_e32 v8, s22, v8
	v_lshrrev_b32_e32 v48, 16, v41
	v_lshrrev_b32_e32 v49, 16, v40
	v_add_co_u32 v27, vcc_lo, s0, v22
	v_lshlrev_b64 v[18:19], 2, v[8:9]
	v_add_nc_u32_e32 v8, s22, v8
	v_add_co_ci_u32_e32 v28, vcc_lo, s1, v23, vcc_lo
	v_add_co_u32 v12, vcc_lo, v27, v12
	v_lshlrev_b64 v[29:30], 2, v[8:9]
	v_add_nc_u32_e32 v8, s22, v8
	v_add_co_ci_u32_e32 v13, vcc_lo, v28, v13, vcc_lo
	v_add_co_u32 v14, vcc_lo, v27, v14
	v_add_co_ci_u32_e32 v15, vcc_lo, v28, v15, vcc_lo
	v_add_co_u32 v16, vcc_lo, v27, v16
	v_lshlrev_b64 v[31:32], 2, v[8:9]
	v_add_nc_u32_e32 v8, s22, v8
	v_add_co_ci_u32_e32 v17, vcc_lo, v28, v17, vcc_lo
	v_add_co_u32 v18, vcc_lo, v27, v18
	v_add_co_ci_u32_e32 v19, vcc_lo, v28, v19, vcc_lo
	v_lshlrev_b64 v[33:34], 2, v[8:9]
	v_add_co_u32 v22, vcc_lo, v27, v29
	v_add_co_ci_u32_e32 v23, vcc_lo, v28, v30, vcc_lo
	v_add_co_u32 v29, vcc_lo, v27, v31
	v_add_co_ci_u32_e32 v30, vcc_lo, v28, v32, vcc_lo
	;; [unrolled: 2-line block ×3, first 2 shown]
	v_lshrrev_b32_e32 v34, 16, v37
	v_lshrrev_b32_e32 v33, 16, v36
	;; [unrolled: 1-line block ×7, first 2 shown]
	v_add_nc_u32_e32 v8, s22, v8
	v_lshlrev_b64 v[20:21], 2, v[8:9]
	v_add_nc_u32_e32 v8, s22, v8
	v_mul_f16_sdwa v53, v0, v48 dst_sel:DWORD dst_unused:UNUSED_PAD src0_sel:WORD_1 src1_sel:DWORD
	v_mul_f16_sdwa v54, v0, v41 dst_sel:DWORD dst_unused:UNUSED_PAD src0_sel:WORD_1 src1_sel:DWORD
	v_mul_f16_sdwa v64, v36, v5 dst_sel:DWORD dst_unused:UNUSED_PAD src0_sel:DWORD src1_sel:WORD_1
	v_mul_f16_sdwa v65, v34, v6 dst_sel:DWORD dst_unused:UNUSED_PAD src0_sel:DWORD src1_sel:WORD_1
	v_mul_f16_sdwa v66, v37, v6 dst_sel:DWORD dst_unused:UNUSED_PAD src0_sel:DWORD src1_sel:WORD_1
	v_mul_f16_sdwa v71, v49, v11 dst_sel:DWORD dst_unused:UNUSED_PAD src0_sel:DWORD src1_sel:WORD_1
	v_mul_f16_sdwa v72, v40, v11 dst_sel:DWORD dst_unused:UNUSED_PAD src0_sel:DWORD src1_sel:WORD_1
	v_mul_f16_sdwa v55, v1, v50 dst_sel:DWORD dst_unused:UNUSED_PAD src0_sel:WORD_1 src1_sel:DWORD
	v_mul_f16_sdwa v56, v1, v42 dst_sel:DWORD dst_unused:UNUSED_PAD src0_sel:WORD_1 src1_sel:DWORD
	v_mul_f16_sdwa v63, v33, v5 dst_sel:DWORD dst_unused:UNUSED_PAD src0_sel:DWORD src1_sel:WORD_1
	v_mul_f16_sdwa v67, v46, v7 dst_sel:DWORD dst_unused:UNUSED_PAD src0_sel:DWORD src1_sel:WORD_1
	;; [unrolled: 1-line block ×5, first 2 shown]
	v_fma_f16 v41, v0, v41, -v53
	v_fmac_f16_e32 v54, v0, v48
	v_fmac_f16_e32 v64, v33, v5
	v_fma_f16 v33, v37, v6, -v65
	v_fmac_f16_e32 v66, v34, v6
	v_fmac_f16_e32 v72, v49, v11
	v_fma_f16 v6, v40, v11, -v71
	v_mul_f16_sdwa v57, v2, v51 dst_sel:DWORD dst_unused:UNUSED_PAD src0_sel:WORD_1 src1_sel:DWORD
	v_mul_f16_sdwa v58, v2, v43 dst_sel:DWORD dst_unused:UNUSED_PAD src0_sel:WORD_1 src1_sel:DWORD
	;; [unrolled: 1-line block ×4, first 2 shown]
	v_mul_f16_sdwa v61, v45, v4 dst_sel:DWORD dst_unused:UNUSED_PAD src0_sel:DWORD src1_sel:WORD_1
	v_mul_f16_sdwa v62, v4, v35 dst_sel:DWORD dst_unused:UNUSED_PAD src0_sel:WORD_1 src1_sel:DWORD
	v_fma_f16 v42, v1, v42, -v55
	v_fmac_f16_e32 v56, v1, v50
	v_fma_f16 v11, v38, v7, -v67
	v_fmac_f16_e32 v68, v46, v7
	;; [unrolled: 2-line block ×3, first 2 shown]
	v_sub_f16_e32 v0, v54, v72
	v_sub_f16_e32 v1, v41, v6
	v_add_f16_e32 v10, v41, v25
	v_fma_f16 v43, v2, v43, -v57
	v_fma_f16 v44, v3, v44, -v59
	v_fmac_f16_e32 v58, v2, v51
	v_fmac_f16_e32 v60, v3, v52
	v_fma_f16 v35, v4, v35, -v61
	v_fmac_f16_e32 v62, v45, v4
	v_fma_f16 v36, v36, v5, -v63
	v_add_f16_e32 v2, v41, v6
	v_add_f16_e32 v3, v54, v72
	v_sub_f16_e32 v4, v56, v70
	v_add_f16_sdwa v34, v54, v25 dst_sel:DWORD dst_unused:UNUSED_PAD src0_sel:DWORD src1_sel:WORD_1
	v_mul_f16_e32 v54, 0xb853, v0
	v_mul_f16_e32 v55, 0xb853, v1
	;; [unrolled: 1-line block ×10, first 2 shown]
	v_add_f16_e32 v1, v10, v42
	v_sub_f16_e32 v37, v42, v7
	v_sub_f16_e32 v39, v58, v68
	;; [unrolled: 1-line block ×7, first 2 shown]
	v_mul_f16_e32 v71, 0xbb47, v4
	v_mul_f16_e32 v73, 0xba0c, v4
	;; [unrolled: 1-line block ×5, first 2 shown]
	v_add_f16_e32 v4, v34, v56
	v_fma_f16 v101, v2, 0x3abb, -v54
	v_fmamk_f16 v102, v3, 0x3abb, v55
	v_fmac_f16_e32 v54, 0x3abb, v2
	v_fma_f16 v55, v3, 0x3abb, -v55
	v_fma_f16 v103, v2, 0x36a6, -v57
	v_fmamk_f16 v104, v3, 0x36a6, v59
	v_fmac_f16_e32 v57, 0x36a6, v2
	v_fma_f16 v59, v3, 0x36a6, -v59
	;; [unrolled: 4-line block ×4, first 2 shown]
	v_fma_f16 v109, v2, 0xbbad, -v69
	v_fmac_f16_e32 v69, 0xbbad, v2
	v_fmamk_f16 v2, v3, 0xbbad, v0
	v_fma_f16 v3, v3, 0xbbad, -v0
	v_add_f16_e32 v0, v1, v43
	v_add_f16_e32 v5, v42, v7
	;; [unrolled: 1-line block ×9, first 2 shown]
	v_mul_f16_e32 v10, 0xbb47, v37
	v_mul_f16_e32 v34, 0xba0c, v37
	;; [unrolled: 1-line block ×35, first 2 shown]
	v_add_f16_e32 v4, v4, v58
	v_add_f16_e32 v44, v0, v44
	v_lshlrev_b64 v[0:1], 2, v[8:9]
	v_add_nc_u32_e32 v8, s22, v8
	v_fmamk_f16 v115, v38, 0x36a6, v10
	v_fma_f16 v10, v38, 0x36a6, -v10
	v_fmamk_f16 v116, v38, 0xb93d, v34
	v_fma_f16 v34, v38, 0xb93d, -v34
	v_fmamk_f16 v117, v38, 0xbbad, v42
	v_fma_f16 v42, v38, 0xbbad, -v42
	v_fmamk_f16 v118, v38, 0xb08e, v56
	v_fma_f16 v56, v38, 0xb08e, -v56
	v_fmamk_f16 v119, v38, 0x3abb, v37
	v_fma_f16 v37, v38, 0x3abb, -v37
	v_fma_f16 v38, v40, 0xb08e, -v77
	v_fmac_f16_e32 v77, 0xb08e, v40
	v_fma_f16 v120, v40, 0xbbad, -v78
	v_fmac_f16_e32 v78, 0xbbad, v40
	v_fma_f16 v121, v40, 0x36a6, -v79
	v_fmac_f16_e32 v79, 0x36a6, v40
	v_fma_f16 v122, v40, 0x3abb, -v80
	v_fmac_f16_e32 v80, 0x3abb, v40
	v_fma_f16 v123, v40, 0xb93d, -v39
	v_fmac_f16_e32 v39, 0xb93d, v40
	v_fmamk_f16 v40, v45, 0xb08e, v81
	v_fma_f16 v43, v45, 0xb08e, -v81
	v_fmamk_f16 v58, v45, 0xbbad, v82
	v_fma_f16 v81, v45, 0xbbad, -v82
	v_fmamk_f16 v82, v45, 0x36a6, v83
	v_fma_f16 v83, v45, 0x36a6, -v83
	v_fmamk_f16 v124, v45, 0x3abb, v84
	v_fma_f16 v84, v45, 0x3abb, -v84
	v_fmamk_f16 v125, v45, 0xb93d, v41
	v_fma_f16 v41, v45, 0xb93d, -v41
	v_fma_f16 v45, v47, 0xb93d, -v85
	v_fmac_f16_e32 v85, 0xb93d, v47
	v_fma_f16 v126, v47, 0xb08e, -v86
	v_fmac_f16_e32 v86, 0xb08e, v47
	v_fma_f16 v127, v47, 0x3abb, -v87
	v_fmac_f16_e32 v87, 0x3abb, v47
	v_fma_f16 v128, v47, 0xbbad, -v88
	v_fmac_f16_e32 v88, 0xbbad, v47
	v_fma_f16 v129, v47, 0x36a6, -v46
	v_fmac_f16_e32 v46, 0x36a6, v47
	;; [unrolled: 20-line block ×3, first 2 shown]
	v_fmamk_f16 v51, v53, 0xbbad, v97
	v_fma_f16 v97, v53, 0xbbad, -v97
	v_fmamk_f16 v138, v53, 0x3abb, v98
	v_fma_f16 v98, v53, 0x3abb, -v98
	;; [unrolled: 2-line block ×5, first 2 shown]
	v_add_f16_e32 v53, v4, v60
	v_add_f16_e32 v60, v101, v25
	v_add_f16_sdwa v101, v102, v25 dst_sel:DWORD dst_unused:UNUSED_PAD src0_sel:DWORD src1_sel:WORD_1
	v_add_f16_e32 v54, v54, v25
	v_add_f16_sdwa v55, v55, v25 dst_sel:DWORD dst_unused:UNUSED_PAD src0_sel:DWORD src1_sel:WORD_1
	;; [unrolled: 2-line block ×10, first 2 shown]
	v_lshlrev_b64 v[2:3], 2, v[8:9]
	v_add_nc_u32_e32 v8, s22, v8
	v_fma_f16 v110, v5, 0x36a6, -v71
	v_fmac_f16_e32 v71, 0x36a6, v5
	v_fma_f16 v111, v5, 0xb93d, -v73
	v_fmac_f16_e32 v73, 0xb93d, v5
	;; [unrolled: 2-line block ×5, first 2 shown]
	v_lshlrev_b64 v[4:5], 2, v[8:9]
	v_add_f16_e32 v8, v44, v35
	v_add_f16_e32 v9, v53, v62
	;; [unrolled: 1-line block ×91, first 2 shown]
	v_add_f16_sdwa v7, v8, v72 dst_sel:WORD_1 dst_unused:UNUSED_PAD src0_sel:DWORD src1_sel:DWORD
	v_pack_b32_f16 v9, v11, v33
	v_pack_b32_f16 v11, v36, v37
	;; [unrolled: 1-line block ×10, first 2 shown]
	v_or_b32_sdwa v6, v7, v6 dst_sel:DWORD dst_unused:UNUSED_PAD src0_sel:DWORD src1_sel:WORD_0
	ds_write2_b32 v24, v11, v33 offset0:22 offset1:33
	ds_write2_b32 v24, v36, v37 offset0:44 offset1:55
	;; [unrolled: 1-line block ×4, first 2 shown]
	ds_write_b32 v24, v10 offset:440
	ds_write2_b32 v24, v6, v9 offset1:11
	v_add_co_u32 v10, vcc_lo, v27, v20
	s_waitcnt lgkmcnt(0)
	s_barrier
	buffer_gl0_inv
	ds_read2_b32 v[6:7], v26 offset1:11
	ds_read2_b32 v[8:9], v26 offset0:22 offset1:33
	v_add_co_ci_u32_e32 v11, vcc_lo, v28, v21, vcc_lo
	ds_read2_b32 v[20:21], v26 offset0:44 offset1:55
	ds_read2_b32 v[24:25], v26 offset0:66 offset1:77
	;; [unrolled: 1-line block ×3, first 2 shown]
	ds_read_b32 v26, v26 offset:440
	v_add_co_u32 v0, vcc_lo, v27, v0
	v_add_co_ci_u32_e32 v1, vcc_lo, v28, v1, vcc_lo
	v_add_co_u32 v2, vcc_lo, v27, v2
	v_add_co_ci_u32_e32 v3, vcc_lo, v28, v3, vcc_lo
	;; [unrolled: 2-line block ×3, first 2 shown]
	s_waitcnt lgkmcnt(5)
	global_store_dword v[12:13], v6, off
	global_store_dword v[14:15], v7, off
	s_waitcnt lgkmcnt(4)
	global_store_dword v[16:17], v8, off
	global_store_dword v[18:19], v9, off
	;; [unrolled: 3-line block ×5, first 2 shown]
	s_waitcnt lgkmcnt(0)
	global_store_dword v[4:5], v26, off
	s_endpgm
	.section	.rodata,"a",@progbits
	.p2align	6, 0x0
	.amdhsa_kernel fft_rtc_fwd_len121_factors_11_11_wgs_121_tpt_11_half_op_CI_CI_sbrc_z_xy_diag
		.amdhsa_group_segment_fixed_size 0
		.amdhsa_private_segment_fixed_size 0
		.amdhsa_kernarg_size 104
		.amdhsa_user_sgpr_count 6
		.amdhsa_user_sgpr_private_segment_buffer 1
		.amdhsa_user_sgpr_dispatch_ptr 0
		.amdhsa_user_sgpr_queue_ptr 0
		.amdhsa_user_sgpr_kernarg_segment_ptr 1
		.amdhsa_user_sgpr_dispatch_id 0
		.amdhsa_user_sgpr_flat_scratch_init 0
		.amdhsa_user_sgpr_private_segment_size 0
		.amdhsa_wavefront_size32 1
		.amdhsa_uses_dynamic_stack 0
		.amdhsa_system_sgpr_private_segment_wavefront_offset 0
		.amdhsa_system_sgpr_workgroup_id_x 1
		.amdhsa_system_sgpr_workgroup_id_y 0
		.amdhsa_system_sgpr_workgroup_id_z 0
		.amdhsa_system_sgpr_workgroup_info 0
		.amdhsa_system_vgpr_workitem_id 0
		.amdhsa_next_free_vgpr 142
		.amdhsa_next_free_sgpr 27
		.amdhsa_reserve_vcc 1
		.amdhsa_reserve_flat_scratch 0
		.amdhsa_float_round_mode_32 0
		.amdhsa_float_round_mode_16_64 0
		.amdhsa_float_denorm_mode_32 3
		.amdhsa_float_denorm_mode_16_64 3
		.amdhsa_dx10_clamp 1
		.amdhsa_ieee_mode 1
		.amdhsa_fp16_overflow 0
		.amdhsa_workgroup_processor_mode 1
		.amdhsa_memory_ordered 1
		.amdhsa_forward_progress 0
		.amdhsa_shared_vgpr_count 0
		.amdhsa_exception_fp_ieee_invalid_op 0
		.amdhsa_exception_fp_denorm_src 0
		.amdhsa_exception_fp_ieee_div_zero 0
		.amdhsa_exception_fp_ieee_overflow 0
		.amdhsa_exception_fp_ieee_underflow 0
		.amdhsa_exception_fp_ieee_inexact 0
		.amdhsa_exception_int_div_zero 0
	.end_amdhsa_kernel
	.text
.Lfunc_end0:
	.size	fft_rtc_fwd_len121_factors_11_11_wgs_121_tpt_11_half_op_CI_CI_sbrc_z_xy_diag, .Lfunc_end0-fft_rtc_fwd_len121_factors_11_11_wgs_121_tpt_11_half_op_CI_CI_sbrc_z_xy_diag
                                        ; -- End function
	.section	.AMDGPU.csdata,"",@progbits
; Kernel info:
; codeLenInByte = 6636
; NumSgprs: 29
; NumVgprs: 142
; ScratchSize: 0
; MemoryBound: 0
; FloatMode: 240
; IeeeMode: 1
; LDSByteSize: 0 bytes/workgroup (compile time only)
; SGPRBlocks: 3
; VGPRBlocks: 17
; NumSGPRsForWavesPerEU: 29
; NumVGPRsForWavesPerEU: 142
; Occupancy: 7
; WaveLimiterHint : 1
; COMPUTE_PGM_RSRC2:SCRATCH_EN: 0
; COMPUTE_PGM_RSRC2:USER_SGPR: 6
; COMPUTE_PGM_RSRC2:TRAP_HANDLER: 0
; COMPUTE_PGM_RSRC2:TGID_X_EN: 1
; COMPUTE_PGM_RSRC2:TGID_Y_EN: 0
; COMPUTE_PGM_RSRC2:TGID_Z_EN: 0
; COMPUTE_PGM_RSRC2:TIDIG_COMP_CNT: 0
	.text
	.p2alignl 6, 3214868480
	.fill 48, 4, 3214868480
	.type	__hip_cuid_8810b0a4761155c7,@object ; @__hip_cuid_8810b0a4761155c7
	.section	.bss,"aw",@nobits
	.globl	__hip_cuid_8810b0a4761155c7
__hip_cuid_8810b0a4761155c7:
	.byte	0                               ; 0x0
	.size	__hip_cuid_8810b0a4761155c7, 1

	.ident	"AMD clang version 19.0.0git (https://github.com/RadeonOpenCompute/llvm-project roc-6.4.0 25133 c7fe45cf4b819c5991fe208aaa96edf142730f1d)"
	.section	".note.GNU-stack","",@progbits
	.addrsig
	.addrsig_sym __hip_cuid_8810b0a4761155c7
	.amdgpu_metadata
---
amdhsa.kernels:
  - .args:
      - .actual_access:  read_only
        .address_space:  global
        .offset:         0
        .size:           8
        .value_kind:     global_buffer
      - .offset:         8
        .size:           8
        .value_kind:     by_value
      - .actual_access:  read_only
        .address_space:  global
        .offset:         16
        .size:           8
        .value_kind:     global_buffer
      - .actual_access:  read_only
        .address_space:  global
        .offset:         24
        .size:           8
        .value_kind:     global_buffer
      - .actual_access:  read_only
        .address_space:  global
        .offset:         32
        .size:           8
        .value_kind:     global_buffer
      - .offset:         40
        .size:           8
        .value_kind:     by_value
      - .actual_access:  read_only
        .address_space:  global
        .offset:         48
        .size:           8
        .value_kind:     global_buffer
      - .actual_access:  read_only
        .address_space:  global
        .offset:         56
        .size:           8
        .value_kind:     global_buffer
      - .offset:         64
        .size:           4
        .value_kind:     by_value
      - .actual_access:  read_only
        .address_space:  global
        .offset:         72
        .size:           8
        .value_kind:     global_buffer
      - .actual_access:  read_only
        .address_space:  global
        .offset:         80
        .size:           8
        .value_kind:     global_buffer
      - .actual_access:  read_only
        .address_space:  global
        .offset:         88
        .size:           8
        .value_kind:     global_buffer
      - .actual_access:  write_only
        .address_space:  global
        .offset:         96
        .size:           8
        .value_kind:     global_buffer
    .group_segment_fixed_size: 0
    .kernarg_segment_align: 8
    .kernarg_segment_size: 104
    .language:       OpenCL C
    .language_version:
      - 2
      - 0
    .max_flat_workgroup_size: 121
    .name:           fft_rtc_fwd_len121_factors_11_11_wgs_121_tpt_11_half_op_CI_CI_sbrc_z_xy_diag
    .private_segment_fixed_size: 0
    .sgpr_count:     29
    .sgpr_spill_count: 0
    .symbol:         fft_rtc_fwd_len121_factors_11_11_wgs_121_tpt_11_half_op_CI_CI_sbrc_z_xy_diag.kd
    .uniform_work_group_size: 1
    .uses_dynamic_stack: false
    .vgpr_count:     142
    .vgpr_spill_count: 0
    .wavefront_size: 32
    .workgroup_processor_mode: 1
amdhsa.target:   amdgcn-amd-amdhsa--gfx1030
amdhsa.version:
  - 1
  - 2
...

	.end_amdgpu_metadata
